;; amdgpu-corpus repo=ROCm/rocFFT kind=compiled arch=gfx906 opt=O3
	.text
	.amdgcn_target "amdgcn-amd-amdhsa--gfx906"
	.amdhsa_code_object_version 6
	.protected	fft_rtc_back_len1764_factors_2_2_3_3_7_7_wgs_126_tpt_126_halfLds_half_ip_CI_unitstride_sbrr_dirReg ; -- Begin function fft_rtc_back_len1764_factors_2_2_3_3_7_7_wgs_126_tpt_126_halfLds_half_ip_CI_unitstride_sbrr_dirReg
	.globl	fft_rtc_back_len1764_factors_2_2_3_3_7_7_wgs_126_tpt_126_halfLds_half_ip_CI_unitstride_sbrr_dirReg
	.p2align	8
	.type	fft_rtc_back_len1764_factors_2_2_3_3_7_7_wgs_126_tpt_126_halfLds_half_ip_CI_unitstride_sbrr_dirReg,@function
fft_rtc_back_len1764_factors_2_2_3_3_7_7_wgs_126_tpt_126_halfLds_half_ip_CI_unitstride_sbrr_dirReg: ; @fft_rtc_back_len1764_factors_2_2_3_3_7_7_wgs_126_tpt_126_halfLds_half_ip_CI_unitstride_sbrr_dirReg
; %bb.0:
	s_load_dwordx2 s[2:3], s[4:5], 0x50
	s_load_dwordx4 s[8:11], s[4:5], 0x0
	s_load_dwordx2 s[12:13], s[4:5], 0x18
	v_mul_u32_u24_e32 v1, 0x209, v0
	v_add_u32_sdwa v5, s6, v1 dst_sel:DWORD dst_unused:UNUSED_PAD src0_sel:DWORD src1_sel:WORD_1
	v_mov_b32_e32 v3, 0
	s_waitcnt lgkmcnt(0)
	v_cmp_lt_u64_e64 s[0:1], s[10:11], 2
	v_mov_b32_e32 v1, 0
	v_mov_b32_e32 v6, v3
	s_and_b64 vcc, exec, s[0:1]
	v_mov_b32_e32 v2, 0
	s_cbranch_vccnz .LBB0_8
; %bb.1:
	s_load_dwordx2 s[0:1], s[4:5], 0x10
	s_add_u32 s6, s12, 8
	s_addc_u32 s7, s13, 0
	v_mov_b32_e32 v1, 0
	v_mov_b32_e32 v2, 0
	s_waitcnt lgkmcnt(0)
	s_add_u32 s14, s0, 8
	s_addc_u32 s15, s1, 0
	s_mov_b64 s[16:17], 1
.LBB0_2:                                ; =>This Inner Loop Header: Depth=1
	s_load_dwordx2 s[18:19], s[14:15], 0x0
                                        ; implicit-def: $vgpr7_vgpr8
	s_waitcnt lgkmcnt(0)
	v_or_b32_e32 v4, s19, v6
	v_cmp_ne_u64_e32 vcc, 0, v[3:4]
	s_and_saveexec_b64 s[0:1], vcc
	s_xor_b64 s[20:21], exec, s[0:1]
	s_cbranch_execz .LBB0_4
; %bb.3:                                ;   in Loop: Header=BB0_2 Depth=1
	v_cvt_f32_u32_e32 v4, s18
	v_cvt_f32_u32_e32 v7, s19
	s_sub_u32 s0, 0, s18
	s_subb_u32 s1, 0, s19
	v_mac_f32_e32 v4, 0x4f800000, v7
	v_rcp_f32_e32 v4, v4
	v_mul_f32_e32 v4, 0x5f7ffffc, v4
	v_mul_f32_e32 v7, 0x2f800000, v4
	v_trunc_f32_e32 v7, v7
	v_mac_f32_e32 v4, 0xcf800000, v7
	v_cvt_u32_f32_e32 v7, v7
	v_cvt_u32_f32_e32 v4, v4
	v_mul_lo_u32 v8, s0, v7
	v_mul_hi_u32 v9, s0, v4
	v_mul_lo_u32 v11, s1, v4
	v_mul_lo_u32 v10, s0, v4
	v_add_u32_e32 v8, v9, v8
	v_add_u32_e32 v8, v8, v11
	v_mul_hi_u32 v9, v4, v10
	v_mul_lo_u32 v11, v4, v8
	v_mul_hi_u32 v13, v4, v8
	v_mul_hi_u32 v12, v7, v10
	v_mul_lo_u32 v10, v7, v10
	v_mul_hi_u32 v14, v7, v8
	v_add_co_u32_e32 v9, vcc, v9, v11
	v_addc_co_u32_e32 v11, vcc, 0, v13, vcc
	v_mul_lo_u32 v8, v7, v8
	v_add_co_u32_e32 v9, vcc, v9, v10
	v_addc_co_u32_e32 v9, vcc, v11, v12, vcc
	v_addc_co_u32_e32 v10, vcc, 0, v14, vcc
	v_add_co_u32_e32 v8, vcc, v9, v8
	v_addc_co_u32_e32 v9, vcc, 0, v10, vcc
	v_add_co_u32_e32 v4, vcc, v4, v8
	v_addc_co_u32_e32 v7, vcc, v7, v9, vcc
	v_mul_lo_u32 v8, s0, v7
	v_mul_hi_u32 v9, s0, v4
	v_mul_lo_u32 v10, s1, v4
	v_mul_lo_u32 v11, s0, v4
	v_add_u32_e32 v8, v9, v8
	v_add_u32_e32 v8, v8, v10
	v_mul_lo_u32 v12, v4, v8
	v_mul_hi_u32 v13, v4, v11
	v_mul_hi_u32 v14, v4, v8
	;; [unrolled: 1-line block ×3, first 2 shown]
	v_mul_lo_u32 v11, v7, v11
	v_mul_hi_u32 v9, v7, v8
	v_add_co_u32_e32 v12, vcc, v13, v12
	v_addc_co_u32_e32 v13, vcc, 0, v14, vcc
	v_mul_lo_u32 v8, v7, v8
	v_add_co_u32_e32 v11, vcc, v12, v11
	v_addc_co_u32_e32 v10, vcc, v13, v10, vcc
	v_addc_co_u32_e32 v9, vcc, 0, v9, vcc
	v_add_co_u32_e32 v8, vcc, v10, v8
	v_addc_co_u32_e32 v9, vcc, 0, v9, vcc
	v_add_co_u32_e32 v4, vcc, v4, v8
	v_addc_co_u32_e32 v9, vcc, v7, v9, vcc
	v_mad_u64_u32 v[7:8], s[0:1], v5, v9, 0
	v_mul_hi_u32 v10, v5, v4
	v_add_co_u32_e32 v11, vcc, v10, v7
	v_addc_co_u32_e32 v12, vcc, 0, v8, vcc
	v_mad_u64_u32 v[7:8], s[0:1], v6, v4, 0
	v_mad_u64_u32 v[9:10], s[0:1], v6, v9, 0
	v_add_co_u32_e32 v4, vcc, v11, v7
	v_addc_co_u32_e32 v4, vcc, v12, v8, vcc
	v_addc_co_u32_e32 v7, vcc, 0, v10, vcc
	v_add_co_u32_e32 v4, vcc, v4, v9
	v_addc_co_u32_e32 v9, vcc, 0, v7, vcc
	v_mul_lo_u32 v10, s19, v4
	v_mul_lo_u32 v11, s18, v9
	v_mad_u64_u32 v[7:8], s[0:1], s18, v4, 0
	v_add3_u32 v8, v8, v11, v10
	v_sub_u32_e32 v10, v6, v8
	v_mov_b32_e32 v11, s19
	v_sub_co_u32_e32 v7, vcc, v5, v7
	v_subb_co_u32_e64 v10, s[0:1], v10, v11, vcc
	v_subrev_co_u32_e64 v11, s[0:1], s18, v7
	v_subbrev_co_u32_e64 v10, s[0:1], 0, v10, s[0:1]
	v_cmp_le_u32_e64 s[0:1], s19, v10
	v_cndmask_b32_e64 v12, 0, -1, s[0:1]
	v_cmp_le_u32_e64 s[0:1], s18, v11
	v_cndmask_b32_e64 v11, 0, -1, s[0:1]
	v_cmp_eq_u32_e64 s[0:1], s19, v10
	v_cndmask_b32_e64 v10, v12, v11, s[0:1]
	v_add_co_u32_e64 v11, s[0:1], 2, v4
	v_addc_co_u32_e64 v12, s[0:1], 0, v9, s[0:1]
	v_add_co_u32_e64 v13, s[0:1], 1, v4
	v_addc_co_u32_e64 v14, s[0:1], 0, v9, s[0:1]
	v_subb_co_u32_e32 v8, vcc, v6, v8, vcc
	v_cmp_ne_u32_e64 s[0:1], 0, v10
	v_cmp_le_u32_e32 vcc, s19, v8
	v_cndmask_b32_e64 v10, v14, v12, s[0:1]
	v_cndmask_b32_e64 v12, 0, -1, vcc
	v_cmp_le_u32_e32 vcc, s18, v7
	v_cndmask_b32_e64 v7, 0, -1, vcc
	v_cmp_eq_u32_e32 vcc, s19, v8
	v_cndmask_b32_e32 v7, v12, v7, vcc
	v_cmp_ne_u32_e32 vcc, 0, v7
	v_cndmask_b32_e64 v7, v13, v11, s[0:1]
	v_cndmask_b32_e32 v8, v9, v10, vcc
	v_cndmask_b32_e32 v7, v4, v7, vcc
.LBB0_4:                                ;   in Loop: Header=BB0_2 Depth=1
	s_andn2_saveexec_b64 s[0:1], s[20:21]
	s_cbranch_execz .LBB0_6
; %bb.5:                                ;   in Loop: Header=BB0_2 Depth=1
	v_cvt_f32_u32_e32 v4, s18
	s_sub_i32 s20, 0, s18
	v_rcp_iflag_f32_e32 v4, v4
	v_mul_f32_e32 v4, 0x4f7ffffe, v4
	v_cvt_u32_f32_e32 v4, v4
	v_mul_lo_u32 v7, s20, v4
	v_mul_hi_u32 v7, v4, v7
	v_add_u32_e32 v4, v4, v7
	v_mul_hi_u32 v4, v5, v4
	v_mul_lo_u32 v7, v4, s18
	v_add_u32_e32 v8, 1, v4
	v_sub_u32_e32 v7, v5, v7
	v_subrev_u32_e32 v9, s18, v7
	v_cmp_le_u32_e32 vcc, s18, v7
	v_cndmask_b32_e32 v7, v7, v9, vcc
	v_cndmask_b32_e32 v4, v4, v8, vcc
	v_add_u32_e32 v8, 1, v4
	v_cmp_le_u32_e32 vcc, s18, v7
	v_cndmask_b32_e32 v7, v4, v8, vcc
	v_mov_b32_e32 v8, v3
.LBB0_6:                                ;   in Loop: Header=BB0_2 Depth=1
	s_or_b64 exec, exec, s[0:1]
	v_mul_lo_u32 v4, v8, s18
	v_mul_lo_u32 v11, v7, s19
	v_mad_u64_u32 v[9:10], s[0:1], v7, s18, 0
	s_load_dwordx2 s[0:1], s[6:7], 0x0
	s_add_u32 s16, s16, 1
	v_add3_u32 v4, v10, v11, v4
	v_sub_co_u32_e32 v5, vcc, v5, v9
	v_subb_co_u32_e32 v4, vcc, v6, v4, vcc
	s_waitcnt lgkmcnt(0)
	v_mul_lo_u32 v4, s0, v4
	v_mul_lo_u32 v6, s1, v5
	v_mad_u64_u32 v[1:2], s[0:1], s0, v5, v[1:2]
	s_addc_u32 s17, s17, 0
	s_add_u32 s6, s6, 8
	v_add3_u32 v2, v6, v2, v4
	v_mov_b32_e32 v4, s10
	v_mov_b32_e32 v5, s11
	s_addc_u32 s7, s7, 0
	v_cmp_ge_u64_e32 vcc, s[16:17], v[4:5]
	s_add_u32 s14, s14, 8
	s_addc_u32 s15, s15, 0
	s_cbranch_vccnz .LBB0_9
; %bb.7:                                ;   in Loop: Header=BB0_2 Depth=1
	v_mov_b32_e32 v5, v7
	v_mov_b32_e32 v6, v8
	s_branch .LBB0_2
.LBB0_8:
	v_mov_b32_e32 v8, v6
	v_mov_b32_e32 v7, v5
.LBB0_9:
	s_lshl_b64 s[0:1], s[10:11], 3
	s_add_u32 s0, s12, s0
	s_addc_u32 s1, s13, s1
	s_load_dwordx2 s[6:7], s[0:1], 0x0
	s_load_dwordx2 s[10:11], s[4:5], 0x20
	v_mov_b32_e32 v9, 0
	v_mov_b32_e32 v11, 0
	;; [unrolled: 1-line block ×3, first 2 shown]
	s_waitcnt lgkmcnt(0)
	v_mad_u64_u32 v[2:3], s[0:1], s6, v7, v[1:2]
	v_mul_lo_u32 v4, s6, v8
	v_mul_lo_u32 v5, s7, v7
	s_mov_b32 s0, 0x2082083
	v_mul_hi_u32 v1, v0, s0
	v_cmp_gt_u64_e32 vcc, s[10:11], v[7:8]
	v_add3_u32 v3, v5, v3, v4
	v_lshlrev_b64 v[2:3], 2, v[2:3]
	v_mul_u32_u24_e32 v1, 0x7e, v1
	v_sub_u32_e32 v0, v0, v1
	v_mov_b32_e32 v1, 0
	v_mov_b32_e32 v5, 0
	;; [unrolled: 1-line block ×4, first 2 shown]
                                        ; implicit-def: $vgpr10
                                        ; implicit-def: $vgpr4
                                        ; implicit-def: $vgpr26
                                        ; implicit-def: $vgpr15
                                        ; implicit-def: $vgpr25
                                        ; implicit-def: $vgpr14
                                        ; implicit-def: $vgpr24
                                        ; implicit-def: $vgpr8
                                        ; implicit-def: $vgpr23
                                        ; implicit-def: $vgpr7
                                        ; implicit-def: $vgpr22
                                        ; implicit-def: $vgpr6
                                        ; implicit-def: $vgpr21
                                        ; implicit-def: $vgpr13
	s_and_saveexec_b64 s[4:5], vcc
	s_cbranch_execz .LBB0_11
; %bb.10:
	v_mov_b32_e32 v1, 0
	v_mov_b32_e32 v4, s3
	v_add_co_u32_e64 v6, s[0:1], s2, v2
	v_addc_co_u32_e64 v7, s[0:1], v4, v3, s[0:1]
	v_lshlrev_b64 v[4:5], 2, v[0:1]
	v_add_co_u32_e64 v17, s[0:1], v6, v4
	v_addc_co_u32_e64 v18, s[0:1], v7, v5, s[0:1]
	s_movk_i32 s0, 0x1000
	global_load_dword v4, v[17:18], off offset:3528
	v_add_co_u32_e64 v21, s[0:1], s0, v17
	v_addc_co_u32_e64 v22, s[0:1], 0, v18, s[0:1]
	global_load_dword v1, v[17:18], off
	global_load_dword v9, v[17:18], off offset:504
	global_load_dword v5, v[17:18], off offset:1008
	;; [unrolled: 1-line block ×12, first 2 shown]
	s_waitcnt vmcnt(6)
	v_lshrrev_b32_e32 v26, 16, v15
	v_lshrrev_b32_e32 v10, 16, v4
	s_waitcnt vmcnt(5)
	v_lshrrev_b32_e32 v25, 16, v14
	s_waitcnt vmcnt(4)
	;; [unrolled: 2-line block ×5, first 2 shown]
	v_lshrrev_b32_e32 v21, 16, v13
.LBB0_11:
	s_or_b64 exec, exec, s[4:5]
	v_sub_f16_e32 v4, v1, v4
	v_fma_f16 v17, v1, 2.0, -v4
	v_sub_f16_e32 v15, v9, v15
	v_pack_b32_f16 v4, v17, v4
	v_lshl_add_u32 v32, v0, 2, 0
	v_fma_f16 v18, v9, 2.0, -v15
	v_sub_f16_e32 v14, v5, v14
	ds_write_b32 v32, v4
	v_add_u32_e32 v4, 0x7e, v0
	v_fma_f16 v19, v5, 2.0, -v14
	v_sub_f16_e32 v27, v11, v8
	v_sub_f16_e32 v31, v16, v6
	v_pack_b32_f16 v6, v18, v15
	v_lshl_add_u32 v33, v4, 2, 0
	v_add_u32_e32 v8, 0xfc, v0
	v_fma_f16 v28, v11, 2.0, -v27
	v_sub_f16_e32 v29, v12, v7
	ds_write_b32 v33, v6
	v_pack_b32_f16 v6, v19, v14
	v_lshl_add_u32 v34, v8, 2, 0
	v_add_u32_e32 v7, 0x17a, v0
	ds_write_b32 v34, v6
	v_pack_b32_f16 v6, v28, v27
	v_lshl_add_u32 v27, v7, 2, 0
	v_fma_f16 v30, v12, 2.0, -v29
	ds_write_b32 v27, v6
	v_add_u32_e32 v6, 0x1f8, v0
	v_pack_b32_f16 v14, v30, v29
	v_lshl_add_u32 v28, v6, 2, 0
	ds_write_b32 v28, v14
	v_fma_f16 v14, v16, 2.0, -v31
	v_add_u32_e32 v29, 0x276, v0
	v_lshrrev_b32_e32 v1, 16, v1
	v_lshrrev_b32_e32 v9, 16, v9
	v_pack_b32_f16 v14, v14, v31
	v_lshl_add_u32 v30, v29, 2, 0
	s_waitcnt vmcnt(0)
	v_sub_f16_e32 v13, v20, v13
	v_sub_f16_e32 v10, v1, v10
	;; [unrolled: 1-line block ×3, first 2 shown]
	ds_write_b32 v30, v14
	v_fma_f16 v14, v20, 2.0, -v13
	v_add_u32_e32 v35, 0x2f4, v0
	v_fma_f16 v1, v1, 2.0, -v10
	v_lshlrev_b32_e32 v37, 1, v0
	v_fma_f16 v9, v9, 2.0, -v26
	v_pack_b32_f16 v13, v14, v13
	v_lshl_add_u32 v31, v35, 2, 0
	v_pack_b32_f16 v36, v1, v10
	v_sub_u32_e32 v1, v32, v37
	v_pack_b32_f16 v9, v9, v26
	v_lshrrev_b32_e32 v5, 16, v5
	ds_write_b32 v31, v13
	s_waitcnt lgkmcnt(0)
	s_barrier
	ds_read_u16 v38, v1
	ds_read_u16 v44, v1 offset:252
	ds_read_u16 v45, v1 offset:504
	;; [unrolled: 1-line block ×13, first 2 shown]
	s_waitcnt lgkmcnt(0)
	s_barrier
	ds_write_b32 v33, v9
	v_sub_f16_e32 v9, v5, v25
	v_fma_f16 v5, v5, 2.0, -v9
	v_pack_b32_f16 v5, v5, v9
	ds_write_b32 v34, v5
	v_lshrrev_b32_e32 v5, 16, v11
	v_sub_f16_e32 v9, v5, v24
	v_fma_f16 v5, v5, 2.0, -v9
	v_pack_b32_f16 v5, v5, v9
	ds_write_b32 v27, v5
	v_lshrrev_b32_e32 v5, 16, v12
	;; [unrolled: 5-line block ×4, first 2 shown]
	v_sub_f16_e32 v9, v5, v21
	v_fma_f16 v5, v5, 2.0, -v9
	v_pack_b32_f16 v5, v5, v9
	ds_write_b32 v31, v5
	v_and_b32_e32 v5, 1, v0
	v_lshlrev_b32_e32 v9, 2, v5
	ds_write_b32 v32, v36
	s_waitcnt lgkmcnt(0)
	s_barrier
	global_load_dword v20, v9, s[8:9]
	ds_read_u16 v21, v1 offset:1764
	ds_read_u16 v16, v1 offset:1512
	s_movk_i32 s0, 0xfc
	v_and_or_b32 v12, v37, s0, v5
	v_lshl_add_u32 v34, v12, 1, 0
	s_movk_i32 s0, 0x1fc
	v_lshlrev_b32_e32 v12, 1, v4
	v_and_or_b32 v12, v12, s0, v5
	s_movk_i32 s0, 0x3fc
	s_movk_i32 s1, 0x5fc
                                        ; implicit-def: $vgpr36
	s_waitcnt vmcnt(0) lgkmcnt(1)
	v_mul_f16_sdwa v9, v21, v20 dst_sel:DWORD dst_unused:UNUSED_PAD src0_sel:DWORD src1_sel:WORD_1
	v_fma_f16 v9, v18, v20, v9
	v_sub_f16_e32 v9, v38, v9
	v_fma_f16 v11, v38, 2.0, -v9
	ds_read_u16 v31, v1
	ds_read_u16 v30, v1 offset:252
	ds_read_u16 v27, v1 offset:504
	;; [unrolled: 1-line block ×11, first 2 shown]
	s_waitcnt lgkmcnt(0)
	s_barrier
	ds_write_b16 v34, v11
	ds_write_b16 v34, v9 offset:4
	v_mul_f16_sdwa v9, v43, v20 dst_sel:DWORD dst_unused:UNUSED_PAD src0_sel:DWORD src1_sel:WORD_1
	v_fma_f16 v9, v19, v20, v9
	v_sub_f16_e32 v9, v44, v9
	v_fma_f16 v11, v44, 2.0, -v9
	v_lshl_add_u32 v44, v12, 1, 0
	ds_write_b16 v44, v11
	ds_write_b16 v44, v9 offset:4
	v_mul_f16_sdwa v9, v42, v20 dst_sel:DWORD dst_unused:UNUSED_PAD src0_sel:DWORD src1_sel:WORD_1
	v_fma_f16 v9, v17, v20, v9
	v_lshlrev_b32_e32 v12, 1, v8
	v_sub_f16_e32 v9, v45, v9
	v_and_or_b32 v12, v12, s0, v5
	v_fma_f16 v11, v45, 2.0, -v9
	v_lshl_add_u32 v45, v12, 1, 0
	ds_write_b16 v45, v11
	ds_write_b16 v45, v9 offset:4
	v_mul_f16_sdwa v9, v41, v20 dst_sel:DWORD dst_unused:UNUSED_PAD src0_sel:DWORD src1_sel:WORD_1
	v_fma_f16 v9, v15, v20, v9
	v_lshlrev_b32_e32 v12, 1, v7
	v_sub_f16_e32 v9, v46, v9
	v_and_or_b32 v12, v12, s0, v5
	v_fma_f16 v11, v46, 2.0, -v9
	v_lshl_add_u32 v46, v12, 1, 0
	ds_write_b16 v46, v11
	ds_write_b16 v46, v9 offset:4
	v_mul_f16_sdwa v9, v40, v20 dst_sel:DWORD dst_unused:UNUSED_PAD src0_sel:DWORD src1_sel:WORD_1
	v_fma_f16 v9, v14, v20, v9
	s_movk_i32 s0, 0x7fc
	v_lshlrev_b32_e32 v12, 1, v6
	v_sub_f16_e32 v9, v47, v9
	v_and_or_b32 v12, v12, s0, v5
	v_fma_f16 v11, v47, 2.0, -v9
	v_lshl_add_u32 v49, v12, 1, 0
	ds_write_b16 v49, v11
	ds_write_b16 v49, v9 offset:4
	v_lshlrev_b32_e32 v9, 1, v29
	v_and_or_b32 v9, v9, s1, v5
	v_lshl_add_u32 v50, v9, 1, 0
	v_lshlrev_b32_e32 v9, 1, v35
	v_mul_f16_sdwa v11, v39, v20 dst_sel:DWORD dst_unused:UNUSED_PAD src0_sel:DWORD src1_sel:WORD_1
	v_and_or_b32 v9, v9, s0, v5
	v_mul_f16_sdwa v5, v38, v20 dst_sel:DWORD dst_unused:UNUSED_PAD src0_sel:DWORD src1_sel:WORD_1
	v_fma_f16 v11, v13, v20, v11
	v_fma_f16 v5, v10, v20, v5
	v_sub_f16_e32 v11, v48, v11
	v_sub_f16_e32 v22, v51, v5
	v_fma_f16 v12, v48, 2.0, -v11
	v_fma_f16 v5, v51, 2.0, -v22
	v_lshl_add_u32 v51, v9, 1, 0
	ds_write_b16 v50, v12
	ds_write_b16 v50, v11 offset:4
	ds_write_b16 v51, v5
	ds_write_b16 v51, v22 offset:4
	s_waitcnt lgkmcnt(0)
	s_barrier
	ds_read_u16 v23, v1
	ds_read_u16 v12, v1 offset:252
	ds_read_u16 v11, v1 offset:504
	;; [unrolled: 1-line block ×11, first 2 shown]
	s_movk_i32 s0, 0x54
	v_cmp_gt_u32_e64 s[0:1], s0, v0
	s_and_saveexec_b64 s[4:5], s[0:1]
	s_cbranch_execz .LBB0_13
; %bb.12:
	ds_read_u16 v5, v1 offset:1008
	ds_read_u16 v22, v1 offset:2184
	;; [unrolled: 1-line block ×3, first 2 shown]
.LBB0_13:
	s_or_b64 exec, exec, s[4:5]
	v_mul_f16_sdwa v18, v18, v20 dst_sel:DWORD dst_unused:UNUSED_PAD src0_sel:DWORD src1_sel:WORD_1
	v_fma_f16 v18, v21, v20, -v18
	v_mul_f16_sdwa v19, v19, v20 dst_sel:DWORD dst_unused:UNUSED_PAD src0_sel:DWORD src1_sel:WORD_1
	v_mul_f16_sdwa v17, v17, v20 dst_sel:DWORD dst_unused:UNUSED_PAD src0_sel:DWORD src1_sel:WORD_1
	;; [unrolled: 1-line block ×4, first 2 shown]
	v_fma_f16 v19, v43, v20, -v19
	v_fma_f16 v17, v42, v20, -v17
	v_fma_f16 v15, v41, v20, -v15
	v_mul_f16_sdwa v14, v14, v20 dst_sel:DWORD dst_unused:UNUSED_PAD src0_sel:DWORD src1_sel:WORD_1
	v_fma_f16 v13, v39, v20, -v13
	v_mul_f16_sdwa v10, v10, v20 dst_sel:DWORD dst_unused:UNUSED_PAD src0_sel:DWORD src1_sel:WORD_1
	v_sub_f16_e32 v18, v31, v18
	v_fma_f16 v14, v40, v20, -v14
	v_fma_f16 v10, v38, v20, -v10
	v_fma_f16 v20, v31, 2.0, -v18
	v_sub_f16_e32 v19, v30, v19
	v_sub_f16_e32 v17, v27, v17
	;; [unrolled: 1-line block ×4, first 2 shown]
	v_fma_f16 v21, v30, 2.0, -v19
	v_fma_f16 v27, v27, 2.0, -v17
	;; [unrolled: 1-line block ×3, first 2 shown]
	v_sub_f16_e32 v30, v25, v14
	v_fma_f16 v24, v24, 2.0, -v31
	v_sub_f16_e32 v13, v16, v10
	v_fma_f16 v25, v25, 2.0, -v30
	v_fma_f16 v14, v16, 2.0, -v13
	s_waitcnt lgkmcnt(0)
	s_barrier
	ds_write_b16 v34, v20
	ds_write_b16 v34, v18 offset:4
	ds_write_b16 v44, v21
	ds_write_b16 v44, v19 offset:4
	;; [unrolled: 2-line block ×7, first 2 shown]
	s_waitcnt lgkmcnt(0)
	s_barrier
	ds_read_u16 v18, v1
	ds_read_u16 v17, v1 offset:252
	ds_read_u16 v10, v1 offset:504
	;; [unrolled: 1-line block ×11, first 2 shown]
                                        ; implicit-def: $vgpr38
	s_and_saveexec_b64 s[4:5], s[0:1]
	s_cbranch_execz .LBB0_15
; %bb.14:
	ds_read_u16 v14, v1 offset:1008
	ds_read_u16 v13, v1 offset:2184
	;; [unrolled: 1-line block ×3, first 2 shown]
.LBB0_15:
	s_or_b64 exec, exec, s[4:5]
	v_and_b32_e32 v15, 3, v0
	v_lshlrev_b32_e32 v19, 3, v15
	global_load_dwordx2 v[43:44], v19, s[8:9] offset:8
	v_and_b32_e32 v45, 3, v4
	v_and_b32_e32 v46, 3, v7
	v_lshlrev_b32_e32 v42, 3, v46
	s_mov_b32 s4, 0xbaee
	s_movk_i32 s5, 0x3aee
	s_waitcnt vmcnt(0)
	v_mul_f16_sdwa v21, v48, v43 dst_sel:DWORD dst_unused:UNUSED_PAD src0_sel:DWORD src1_sel:WORD_1
	v_mul_f16_sdwa v25, v47, v44 dst_sel:DWORD dst_unused:UNUSED_PAD src0_sel:DWORD src1_sel:WORD_1
	s_waitcnt lgkmcnt(5)
	v_mul_f16_sdwa v19, v20, v43 dst_sel:DWORD dst_unused:UNUSED_PAD src0_sel:DWORD src1_sel:WORD_1
	v_fma_f16 v20, v20, v43, -v21
	s_waitcnt lgkmcnt(3)
	v_mul_f16_sdwa v21, v24, v44 dst_sel:DWORD dst_unused:UNUSED_PAD src0_sel:DWORD src1_sel:WORD_1
	v_fma_f16 v24, v24, v44, -v25
	v_lshlrev_b32_e32 v25, 3, v45
	v_fma_f16 v21, v47, v44, v21
	global_load_ushort v30, v25, s[8:9] offset:8
	global_load_dword v47, v42, s[8:9] offset:8
	v_fma_f16 v19, v48, v43, v19
	global_load_dword v48, v42, s[8:9] offset:12
	s_waitcnt vmcnt(1)
	v_mul_f16_sdwa v25, v26, v47 dst_sel:DWORD dst_unused:UNUSED_PAD src0_sel:DWORD src1_sel:WORD_1
	v_fma_f16 v25, v37, v30, v25
	v_mul_f16_sdwa v34, v37, v47 dst_sel:DWORD dst_unused:UNUSED_PAD src0_sel:DWORD src1_sel:WORD_1
	global_load_dword v37, v42, s[8:9] offset:10
	v_fma_f16 v26, v26, v30, -v34
	s_waitcnt vmcnt(1) lgkmcnt(2)
	v_mul_f16_sdwa v30, v27, v48 dst_sel:DWORD dst_unused:UNUSED_PAD src0_sel:DWORD src1_sel:WORD_1
	s_waitcnt vmcnt(0)
	v_lshrrev_b32_e32 v34, 16, v37
	v_fma_f16 v30, v32, v34, v30
	v_mul_f16_sdwa v32, v32, v48 dst_sel:DWORD dst_unused:UNUSED_PAD src0_sel:DWORD src1_sel:WORD_1
	v_fma_f16 v34, v27, v34, -v32
	v_mul_f16_sdwa v27, v31, v43 dst_sel:DWORD dst_unused:UNUSED_PAD src0_sel:DWORD src1_sel:WORD_1
	v_fma_f16 v27, v29, v43, v27
	v_mul_f16_sdwa v29, v29, v43 dst_sel:DWORD dst_unused:UNUSED_PAD src0_sel:DWORD src1_sel:WORD_1
	v_fma_f16 v31, v31, v43, -v29
	s_waitcnt lgkmcnt(1)
	v_mul_f16_sdwa v29, v41, v44 dst_sel:DWORD dst_unused:UNUSED_PAD src0_sel:DWORD src1_sel:WORD_1
	v_fma_f16 v32, v35, v44, v29
	v_mul_f16_sdwa v29, v35, v44 dst_sel:DWORD dst_unused:UNUSED_PAD src0_sel:DWORD src1_sel:WORD_1
	v_fma_f16 v35, v41, v44, -v29
	v_mul_f16_e32 v29, v39, v37
	v_fma_f16 v29, v33, v47, v29
	v_mul_f16_e32 v33, v33, v37
	global_load_ushort v37, v42, s[8:9] offset:14
	v_fma_f16 v33, v39, v47, -v33
	s_waitcnt vmcnt(0) lgkmcnt(0)
	s_barrier
	v_mul_f16_e32 v39, v40, v37
	v_fma_f16 v39, v28, v48, v39
	v_mul_f16_e32 v28, v28, v37
	v_fma_f16 v42, v40, v48, -v28
	v_mul_f16_sdwa v28, v13, v43 dst_sel:DWORD dst_unused:UNUSED_PAD src0_sel:DWORD src1_sel:WORD_1
	v_fma_f16 v37, v22, v43, v28
	v_mul_f16_sdwa v22, v22, v43 dst_sel:DWORD dst_unused:UNUSED_PAD src0_sel:DWORD src1_sel:WORD_1
	v_fma_f16 v40, v13, v43, -v22
	v_mul_f16_sdwa v13, v38, v44 dst_sel:DWORD dst_unused:UNUSED_PAD src0_sel:DWORD src1_sel:WORD_1
	v_fma_f16 v41, v36, v44, v13
	v_mul_f16_sdwa v13, v36, v44 dst_sel:DWORD dst_unused:UNUSED_PAD src0_sel:DWORD src1_sel:WORD_1
	v_add_f16_e32 v22, v19, v21
	v_fma_f16 v43, v38, v44, -v13
	v_add_f16_e32 v13, v23, v19
	v_fma_f16 v22, v22, -0.5, v23
	v_sub_f16_e32 v23, v20, v24
	v_fma_f16 v28, v23, s4, v22
	v_fma_f16 v36, v23, s5, v22
	v_add_f16_e32 v22, v12, v25
	v_add_f16_e32 v38, v22, v30
	v_add_f16_e32 v22, v25, v30
	v_fma_f16 v12, v22, -0.5, v12
	v_sub_f16_e32 v22, v26, v34
	v_fma_f16 v44, v22, s4, v12
	v_fma_f16 v12, v22, s5, v12
	v_add_f16_e32 v22, v11, v27
	v_add_f16_e32 v47, v22, v32
	;; [unrolled: 7-line block ×4, first 2 shown]
	v_fma_f16 v5, v22, -0.5, v5
	v_sub_f16_e32 v22, v40, v43
	v_fma_f16 v23, v22, s4, v5
	v_fma_f16 v22, v22, s5, v5
	v_lshrrev_b32_e32 v5, 2, v0
	v_mul_u32_u24_e32 v5, 12, v5
	v_or_b32_e32 v5, v5, v15
	v_add_f16_e32 v13, v13, v21
	v_lshl_add_u32 v50, v5, 1, 0
	v_lshrrev_b32_e32 v5, 2, v4
	ds_write_b16 v50, v13
	ds_write_b16 v50, v28 offset:8
	ds_write_b16 v50, v36 offset:16
	v_mul_u32_u24_e32 v13, 12, v5
	v_or_b32_e32 v13, v13, v45
	v_lshl_add_u32 v51, v13, 1, 0
	ds_write_b16 v51, v38
	ds_write_b16 v51, v44 offset:8
	ds_write_b16 v51, v12 offset:16
	v_lshrrev_b32_e32 v12, 2, v8
	v_mul_u32_u24_e32 v12, 12, v12
	v_or_b32_e32 v12, v12, v15
	v_lshl_add_u32 v52, v12, 1, 0
	ds_write_b16 v52, v47
	ds_write_b16 v52, v48 offset:8
	ds_write_b16 v52, v11 offset:16
	v_lshrrev_b32_e32 v11, 2, v7
	v_mul_u32_u24_e32 v11, 12, v11
	v_or_b32_e32 v11, v11, v46
	v_lshl_add_u32 v54, v11, 1, 0
	v_add_f16_e32 v9, v9, v41
	ds_write_b16 v54, v49
	ds_write_b16 v54, v53 offset:8
	ds_write_b16 v54, v55 offset:16
	v_lshrrev_b32_e32 v53, 2, v6
	s_and_saveexec_b64 s[4:5], s[0:1]
	s_cbranch_execz .LBB0_17
; %bb.16:
	v_mul_u32_u24_e32 v11, 12, v53
	v_or_b32_e32 v11, v11, v15
	v_lshl_add_u32 v11, v11, 1, 0
	ds_write_b16 v11, v9
	ds_write_b16 v11, v23 offset:8
	ds_write_b16 v11, v22 offset:16
.LBB0_17:
	s_or_b64 exec, exec, s[4:5]
	s_waitcnt lgkmcnt(0)
	s_barrier
	ds_read_u16 v28, v1
	ds_read_u16 v13, v1 offset:252
	ds_read_u16 v11, v1 offset:504
	;; [unrolled: 1-line block ×11, first 2 shown]
	s_and_saveexec_b64 s[4:5], s[0:1]
	s_cbranch_execz .LBB0_19
; %bb.18:
	ds_read_u16 v9, v1 offset:1008
	ds_read_u16 v23, v1 offset:2184
	;; [unrolled: 1-line block ×3, first 2 shown]
.LBB0_19:
	s_or_b64 exec, exec, s[4:5]
	v_add_f16_e32 v55, v18, v20
	v_add_f16_e32 v20, v20, v24
	v_fma_f16 v18, v20, -0.5, v18
	v_sub_f16_e32 v19, v19, v21
	s_movk_i32 s4, 0x3aee
	s_mov_b32 s5, 0xbaee
	v_add_f16_e32 v21, v26, v34
	v_fma_f16 v20, v19, s4, v18
	v_fma_f16 v18, v19, s5, v18
	v_add_f16_e32 v19, v17, v26
	v_fma_f16 v17, v21, -0.5, v17
	v_sub_f16_e32 v21, v25, v30
	v_add_f16_e32 v25, v31, v35
	v_add_f16_e32 v55, v55, v24
	v_fma_f16 v24, v21, s4, v17
	v_fma_f16 v17, v21, s5, v17
	v_add_f16_e32 v21, v10, v31
	v_fma_f16 v10, v25, -0.5, v10
	v_sub_f16_e32 v25, v27, v32
	v_fma_f16 v26, v25, s4, v10
	v_fma_f16 v25, v25, s5, v10
	v_add_f16_e32 v10, v16, v33
	v_add_f16_e32 v27, v10, v42
	;; [unrolled: 1-line block ×3, first 2 shown]
	v_fma_f16 v10, v10, -0.5, v16
	v_sub_f16_e32 v16, v29, v39
	v_add_f16_e32 v30, v40, v43
	v_fma_f16 v29, v16, s4, v10
	v_fma_f16 v16, v16, s5, v10
	v_add_f16_e32 v10, v14, v40
	v_fma_f16 v14, v30, -0.5, v14
	v_sub_f16_e32 v30, v37, v41
	v_add_f16_e32 v10, v10, v43
	v_fma_f16 v32, v30, s4, v14
	v_fma_f16 v37, v30, s5, v14
	v_add_f16_e32 v19, v19, v34
	v_add_f16_e32 v21, v21, v35
	s_waitcnt lgkmcnt(0)
	s_barrier
	ds_write_b16 v50, v55
	ds_write_b16 v50, v20 offset:8
	ds_write_b16 v50, v18 offset:16
	ds_write_b16 v51, v19
	ds_write_b16 v51, v24 offset:8
	ds_write_b16 v51, v17 offset:16
	;; [unrolled: 3-line block ×4, first 2 shown]
	s_and_saveexec_b64 s[4:5], s[0:1]
	s_cbranch_execz .LBB0_21
; %bb.20:
	v_mul_u32_u24_e32 v14, 12, v53
	v_or_b32_e32 v14, v14, v15
	v_lshl_add_u32 v14, v14, 1, 0
	ds_write_b16 v14, v10
	ds_write_b16 v14, v32 offset:8
	ds_write_b16 v14, v37 offset:16
.LBB0_21:
	s_or_b64 exec, exec, s[4:5]
	s_waitcnt lgkmcnt(0)
	s_barrier
	ds_read_u16 v17, v1
	ds_read_u16 v16, v1 offset:252
	ds_read_u16 v14, v1 offset:504
	;; [unrolled: 1-line block ×11, first 2 shown]
	s_and_saveexec_b64 s[4:5], s[0:1]
	s_cbranch_execz .LBB0_23
; %bb.22:
	ds_read_u16 v10, v1 offset:1008
	ds_read_u16 v32, v1 offset:2184
	;; [unrolled: 1-line block ×3, first 2 shown]
.LBB0_23:
	s_or_b64 exec, exec, s[4:5]
	s_movk_i32 s4, 0xab
	v_mul_lo_u16_sdwa v18, v0, s4 dst_sel:DWORD dst_unused:UNUSED_PAD src0_sel:BYTE_0 src1_sel:DWORD
	v_lshrrev_b16_e32 v42, 11, v18
	v_mul_lo_u16_e32 v18, 12, v42
	v_sub_u16_e32 v18, v0, v18
	v_mov_b32_e32 v24, 1
	v_mov_b32_e32 v26, 3
	v_lshlrev_b32_sdwa v43, v24, v18 dst_sel:DWORD dst_unused:UNUSED_PAD src0_sel:DWORD src1_sel:BYTE_0
	v_lshlrev_b32_sdwa v18, v26, v18 dst_sel:DWORD dst_unused:UNUSED_PAD src0_sel:DWORD src1_sel:BYTE_0
	global_load_dwordx2 v[40:41], v18, s[8:9] offset:40
	s_mov_b32 s6, 0xbaee
	s_movk_i32 s7, 0x3aee
	s_waitcnt vmcnt(0)
	v_mul_f16_sdwa v20, v49, v40 dst_sel:DWORD dst_unused:UNUSED_PAD src0_sel:DWORD src1_sel:WORD_1
	v_mul_f16_sdwa v30, v48, v41 dst_sel:DWORD dst_unused:UNUSED_PAD src0_sel:DWORD src1_sel:WORD_1
	s_waitcnt lgkmcnt(5)
	v_mul_f16_sdwa v18, v19, v40 dst_sel:DWORD dst_unused:UNUSED_PAD src0_sel:DWORD src1_sel:WORD_1
	v_fma_f16 v19, v19, v40, -v20
	s_waitcnt lgkmcnt(3)
	v_mul_f16_sdwa v20, v21, v41 dst_sel:DWORD dst_unused:UNUSED_PAD src0_sel:DWORD src1_sel:WORD_1
	v_fma_f16 v21, v21, v41, -v30
	v_mul_lo_u16_sdwa v30, v4, s4 dst_sel:DWORD dst_unused:UNUSED_PAD src0_sel:BYTE_0 src1_sel:DWORD
	v_fma_f16 v20, v48, v41, v20
	v_lshrrev_b16_e32 v48, 11, v30
	v_mul_lo_u16_e32 v30, 12, v48
	v_sub_u16_e32 v30, v4, v30
	v_fma_f16 v18, v49, v40, v18
	v_lshlrev_b32_sdwa v49, v24, v30 dst_sel:DWORD dst_unused:UNUSED_PAD src0_sel:DWORD src1_sel:BYTE_0
	v_lshlrev_b32_sdwa v24, v26, v30 dst_sel:DWORD dst_unused:UNUSED_PAD src0_sel:DWORD src1_sel:BYTE_0
	global_load_dwordx2 v[40:41], v24, s[8:9] offset:40
	s_mov_b32 s4, 0xaaab
	s_waitcnt vmcnt(0)
	v_mul_f16_sdwa v26, v46, v40 dst_sel:DWORD dst_unused:UNUSED_PAD src0_sel:DWORD src1_sel:WORD_1
	v_mul_f16_sdwa v30, v47, v41 dst_sel:DWORD dst_unused:UNUSED_PAD src0_sel:DWORD src1_sel:WORD_1
	;; [unrolled: 1-line block ×3, first 2 shown]
	v_fma_f16 v25, v25, v40, -v26
	s_waitcnt lgkmcnt(2)
	v_mul_f16_sdwa v26, v27, v41 dst_sel:DWORD dst_unused:UNUSED_PAD src0_sel:DWORD src1_sel:WORD_1
	v_fma_f16 v27, v27, v41, -v30
	v_mul_u32_u24_sdwa v30, v8, s4 dst_sel:DWORD dst_unused:UNUSED_PAD src0_sel:WORD_0 src1_sel:DWORD
	v_fma_f16 v24, v46, v40, v24
	v_lshrrev_b32_e32 v46, 19, v30
	v_mul_lo_u16_e32 v30, 12, v46
	v_sub_u16_e32 v8, v8, v30
	v_fma_f16 v26, v47, v41, v26
	v_lshlrev_b32_e32 v47, 1, v8
	v_lshlrev_b32_e32 v8, 3, v8
	global_load_dwordx2 v[40:41], v8, s[8:9] offset:40
	s_waitcnt vmcnt(0)
	v_mul_f16_sdwa v30, v44, v40 dst_sel:DWORD dst_unused:UNUSED_PAD src0_sel:DWORD src1_sel:WORD_1
	v_mul_f16_sdwa v33, v45, v41 dst_sel:DWORD dst_unused:UNUSED_PAD src0_sel:DWORD src1_sel:WORD_1
	;; [unrolled: 1-line block ×3, first 2 shown]
	v_fma_f16 v29, v29, v40, -v30
	s_waitcnt lgkmcnt(1)
	v_mul_f16_sdwa v30, v31, v41 dst_sel:DWORD dst_unused:UNUSED_PAD src0_sel:DWORD src1_sel:WORD_1
	v_fma_f16 v31, v31, v41, -v33
	v_mul_u32_u24_sdwa v33, v7, s4 dst_sel:DWORD dst_unused:UNUSED_PAD src0_sel:WORD_0 src1_sel:DWORD
	v_fma_f16 v8, v44, v40, v8
	v_lshrrev_b32_e32 v44, 19, v33
	v_mul_lo_u16_e32 v33, 12, v44
	v_sub_u16_e32 v7, v7, v33
	v_fma_f16 v30, v45, v41, v30
	v_lshlrev_b32_e32 v45, 1, v7
	v_lshlrev_b32_e32 v7, 3, v7
	global_load_dwordx2 v[40:41], v7, s[8:9] offset:40
	s_waitcnt vmcnt(0)
	v_mul_f16_sdwa v7, v34, v40 dst_sel:DWORD dst_unused:UNUSED_PAD src0_sel:DWORD src1_sel:WORD_1
	v_fma_f16 v33, v36, v40, v7
	v_mul_f16_sdwa v7, v36, v40 dst_sel:DWORD dst_unused:UNUSED_PAD src0_sel:DWORD src1_sel:WORD_1
	v_fma_f16 v34, v34, v40, -v7
	s_waitcnt lgkmcnt(0)
	v_mul_f16_sdwa v7, v39, v41 dst_sel:DWORD dst_unused:UNUSED_PAD src0_sel:DWORD src1_sel:WORD_1
	v_fma_f16 v35, v38, v41, v7
	v_mul_f16_sdwa v7, v38, v41 dst_sel:DWORD dst_unused:UNUSED_PAD src0_sel:DWORD src1_sel:WORD_1
	v_fma_f16 v36, v39, v41, -v7
	v_mul_u32_u24_sdwa v7, v6, s4 dst_sel:DWORD dst_unused:UNUSED_PAD src0_sel:WORD_0 src1_sel:DWORD
	v_lshrrev_b32_e32 v50, 19, v7
	v_mul_lo_u16_e32 v7, 12, v50
	v_sub_u16_e32 v6, v6, v7
	v_lshlrev_b32_e32 v7, 3, v6
	global_load_dwordx2 v[38:39], v7, s[8:9] offset:40
	s_waitcnt vmcnt(0)
	s_barrier
	v_mul_f16_sdwa v7, v32, v38 dst_sel:DWORD dst_unused:UNUSED_PAD src0_sel:DWORD src1_sel:WORD_1
	v_fma_f16 v7, v23, v38, v7
	v_mul_f16_sdwa v23, v23, v38 dst_sel:DWORD dst_unused:UNUSED_PAD src0_sel:DWORD src1_sel:WORD_1
	v_fma_f16 v23, v32, v38, -v23
	v_mul_f16_sdwa v32, v37, v39 dst_sel:DWORD dst_unused:UNUSED_PAD src0_sel:DWORD src1_sel:WORD_1
	v_fma_f16 v32, v22, v39, v32
	v_mul_f16_sdwa v22, v22, v39 dst_sel:DWORD dst_unused:UNUSED_PAD src0_sel:DWORD src1_sel:WORD_1
	v_add_f16_e32 v38, v18, v20
	v_fma_f16 v22, v37, v39, -v22
	v_add_f16_e32 v37, v28, v18
	v_fma_f16 v28, v38, -0.5, v28
	v_sub_f16_e32 v38, v19, v21
	v_fma_f16 v39, v38, s6, v28
	v_fma_f16 v28, v38, s7, v28
	v_add_f16_e32 v38, v13, v24
	v_add_f16_e32 v40, v38, v26
	v_add_f16_e32 v38, v24, v26
	v_fma_f16 v13, v38, -0.5, v13
	v_sub_f16_e32 v38, v25, v27
	v_fma_f16 v41, v38, s6, v13
	v_fma_f16 v13, v38, s7, v13
	v_add_f16_e32 v38, v11, v8
	v_add_f16_e32 v51, v38, v30
	v_add_f16_e32 v38, v8, v30
	v_fma_f16 v11, v38, -0.5, v11
	v_sub_f16_e32 v38, v29, v31
	v_fma_f16 v52, v38, s6, v11
	v_fma_f16 v11, v38, s7, v11
	v_add_f16_e32 v38, v12, v33
	v_add_f16_e32 v53, v38, v35
	v_add_f16_e32 v38, v33, v35
	v_fma_f16 v12, v38, -0.5, v12
	v_sub_f16_e32 v38, v34, v36
	v_fma_f16 v54, v38, s6, v12
	v_fma_f16 v12, v38, s7, v12
	v_mul_u32_u24_e32 v38, 0x48, v42
	v_add_f16_e32 v37, v37, v20
	v_add3_u32 v38, 0, v38, v43
	ds_write_b16 v38, v37
	ds_write_b16 v38, v39 offset:24
	ds_write_b16 v38, v28 offset:48
	v_mul_u32_u24_e32 v28, 0x48, v48
	v_add3_u32 v39, 0, v28, v49
	ds_write_b16 v39, v40
	ds_write_b16 v39, v41 offset:24
	ds_write_b16 v39, v13 offset:48
	v_mul_u32_u24_e32 v13, 0x48, v46
	;; [unrolled: 5-line block ×3, first 2 shown]
	v_add3_u32 v41, 0, v11, v45
	v_mul_lo_u16_e32 v28, 36, v50
	v_lshlrev_b32_e32 v37, 1, v6
	ds_write_b16 v41, v53
	ds_write_b16 v41, v54 offset:24
	ds_write_b16 v41, v12 offset:48
	s_and_saveexec_b64 s[4:5], s[0:1]
	s_cbranch_execz .LBB0_25
; %bb.24:
	v_add_f16_e32 v6, v7, v32
	v_fma_f16 v6, v6, -0.5, v9
	v_sub_f16_e32 v11, v23, v22
	v_fma_f16 v12, v11, s7, v6
	v_fma_f16 v6, v11, s6, v6
	v_add_f16_e32 v9, v9, v7
	v_lshlrev_b32_e32 v11, 1, v28
	v_add_f16_e32 v9, v9, v32
	v_add3_u32 v11, 0, v37, v11
	ds_write_b16 v11, v9
	ds_write_b16 v11, v6 offset:24
	ds_write_b16 v11, v12 offset:48
.LBB0_25:
	s_or_b64 exec, exec, s[4:5]
	v_add_f16_e32 v6, v17, v19
	v_add_f16_e32 v42, v6, v21
	v_add_f16_e32 v6, v19, v21
	v_fma_f16 v6, v6, -0.5, v17
	v_sub_f16_e32 v9, v18, v20
	v_fma_f16 v43, v9, s7, v6
	v_fma_f16 v44, v9, s6, v6
	v_add_f16_e32 v6, v16, v25
	v_add_f16_e32 v45, v6, v27
	v_add_f16_e32 v6, v25, v27
	v_fma_f16 v6, v6, -0.5, v16
	v_sub_f16_e32 v9, v24, v26
	v_fma_f16 v24, v9, s7, v6
	v_fma_f16 v25, v9, s6, v6
	;; [unrolled: 7-line block ×4, first 2 shown]
	s_waitcnt lgkmcnt(0)
	s_barrier
	ds_read_u16 v8, v1
	ds_read_u16 v16, v1 offset:2016
	ds_read_u16 v9, v1 offset:1764
	;; [unrolled: 1-line block ×13, first 2 shown]
	s_waitcnt lgkmcnt(0)
	s_barrier
	ds_write_b16 v38, v42
	ds_write_b16 v38, v43 offset:24
	ds_write_b16 v38, v44 offset:48
	ds_write_b16 v39, v45
	ds_write_b16 v39, v24 offset:24
	ds_write_b16 v39, v25 offset:48
	;; [unrolled: 3-line block ×4, first 2 shown]
	s_and_saveexec_b64 s[4:5], s[0:1]
	s_cbranch_execz .LBB0_27
; %bb.26:
	v_add_f16_e32 v24, v10, v23
	v_add_f16_e32 v24, v24, v22
	;; [unrolled: 1-line block ×3, first 2 shown]
	v_fma_f16 v10, v22, -0.5, v10
	v_sub_f16_e32 v7, v7, v32
	s_movk_i32 s0, 0x3aee
	v_fma_f16 v22, v7, s0, v10
	s_mov_b32 s0, 0xbaee
	v_fma_f16 v7, v7, s0, v10
	v_lshlrev_b32_e32 v10, 1, v28
	v_add3_u32 v10, 0, v37, v10
	ds_write_b16 v10, v24
	ds_write_b16 v10, v22 offset:24
	ds_write_b16 v10, v7 offset:48
.LBB0_27:
	s_or_b64 exec, exec, s[4:5]
	v_mov_b32_e32 v7, 57
	v_mul_lo_u16_sdwa v10, v0, v7 dst_sel:DWORD dst_unused:UNUSED_PAD src0_sel:BYTE_0 src1_sel:DWORD
	v_lshrrev_b16_e32 v10, 11, v10
	v_mul_lo_u16_e32 v22, 36, v10
	v_sub_u16_e32 v34, v0, v22
	v_mov_b32_e32 v26, 6
	v_mul_u32_u24_sdwa v22, v34, v26 dst_sel:DWORD dst_unused:UNUSED_PAD src0_sel:BYTE_0 src1_sel:DWORD
	v_mul_lo_u16_sdwa v7, v4, v7 dst_sel:DWORD dst_unused:UNUSED_PAD src0_sel:BYTE_0 src1_sel:DWORD
	v_lshlrev_b32_e32 v27, 2, v22
	v_lshrrev_b16_e32 v7, 11, v7
	s_waitcnt lgkmcnt(0)
	s_barrier
	global_load_dwordx4 v[22:25], v27, s[8:9] offset:136
	global_load_dwordx2 v[30:31], v27, s[8:9] offset:152
	v_mul_lo_u16_e32 v27, 36, v7
	v_sub_u16_e32 v35, v4, v27
	v_mul_u32_u24_sdwa v26, v35, v26 dst_sel:DWORD dst_unused:UNUSED_PAD src0_sel:BYTE_0 src1_sel:DWORD
	v_lshlrev_b32_e32 v36, 2, v26
	global_load_dwordx4 v[26:29], v36, s[8:9] offset:136
	global_load_dwordx2 v[32:33], v36, s[8:9] offset:152
	ds_read_u16 v36, v1
	ds_read_u16 v37, v1 offset:2016
	ds_read_u16 v38, v1 offset:1764
	;; [unrolled: 1-line block ×13, first 2 shown]
	s_movk_i32 s12, 0x2b26
	s_mov_b32 s0, 0xbb00
	s_mov_b32 s10, 0xbcab
	s_movk_i32 s1, 0x39e0
	s_mov_b32 s4, 0xb9e0
	s_mov_b32 s11, 0xb574
	s_movk_i32 s5, 0x3574
	s_mov_b32 s6, 0xb70e
	v_mul_u32_u24_e32 v10, 0x1f8, v10
	s_waitcnt vmcnt(0) lgkmcnt(0)
	s_barrier
	v_mul_u32_u24_e32 v7, 0x1f8, v7
	s_movk_i32 s7, 0x3a52
	v_mul_f16_sdwa v50, v43, v22 dst_sel:DWORD dst_unused:UNUSED_PAD src0_sel:DWORD src1_sel:WORD_1
	v_mul_f16_sdwa v51, v21, v22 dst_sel:DWORD dst_unused:UNUSED_PAD src0_sel:DWORD src1_sel:WORD_1
	;; [unrolled: 1-line block ×12, first 2 shown]
	v_fma_f16 v21, v21, v22, v50
	v_fma_f16 v22, v43, v22, -v51
	v_fma_f16 v20, v20, v23, v52
	v_fma_f16 v23, v41, v23, -v53
	v_fma_f16 v19, v19, v24, v54
	v_mul_f16_sdwa v52, v38, v28 dst_sel:DWORD dst_unused:UNUSED_PAD src0_sel:DWORD src1_sel:WORD_1
	v_fma_f16 v24, v39, v24, -v55
	v_mul_f16_sdwa v39, v9, v28 dst_sel:DWORD dst_unused:UNUSED_PAD src0_sel:DWORD src1_sel:WORD_1
	v_fma_f16 v16, v16, v25, v56
	v_mul_f16_sdwa v53, v49, v29 dst_sel:DWORD dst_unused:UNUSED_PAD src0_sel:DWORD src1_sel:WORD_1
	v_fma_f16 v25, v37, v25, -v57
	v_mul_f16_sdwa v37, v15, v29 dst_sel:DWORD dst_unused:UNUSED_PAD src0_sel:DWORD src1_sel:WORD_1
	v_fma_f16 v18, v18, v30, v58
	v_fma_f16 v30, v48, v30, -v59
	v_fma_f16 v17, v17, v31, v60
	v_fma_f16 v31, v46, v31, -v61
	;; [unrolled: 2-line block ×4, first 2 shown]
	v_add_f16_e32 v37, v21, v17
	v_add_f16_e32 v38, v22, v31
	v_sub_f16_e32 v17, v21, v17
	v_sub_f16_e32 v21, v22, v31
	v_add_f16_e32 v22, v20, v18
	v_add_f16_e32 v31, v23, v30
	v_mul_f16_sdwa v50, v42, v26 dst_sel:DWORD dst_unused:UNUSED_PAD src0_sel:DWORD src1_sel:WORD_1
	v_mul_f16_sdwa v43, v14, v26 dst_sel:DWORD dst_unused:UNUSED_PAD src0_sel:DWORD src1_sel:WORD_1
	;; [unrolled: 1-line block ×6, first 2 shown]
	v_sub_f16_e32 v18, v20, v18
	v_sub_f16_e32 v20, v23, v30
	v_add_f16_e32 v23, v19, v16
	v_add_f16_e32 v30, v24, v25
	v_sub_f16_e32 v16, v16, v19
	v_sub_f16_e32 v19, v25, v24
	v_add_f16_e32 v24, v22, v37
	v_add_f16_e32 v25, v31, v38
	v_fma_f16 v14, v14, v26, v50
	v_fma_f16 v26, v42, v26, -v43
	v_fma_f16 v12, v12, v27, v51
	v_fma_f16 v27, v40, v27, -v41
	;; [unrolled: 2-line block ×3, first 2 shown]
	v_sub_f16_e32 v39, v22, v37
	v_sub_f16_e32 v40, v31, v38
	;; [unrolled: 1-line block ×6, first 2 shown]
	v_add_f16_e32 v41, v16, v18
	v_add_f16_e32 v42, v19, v20
	v_sub_f16_e32 v43, v16, v18
	v_sub_f16_e32 v45, v19, v20
	;; [unrolled: 1-line block ×4, first 2 shown]
	v_add_f16_e32 v23, v23, v24
	v_add_f16_e32 v24, v30, v25
	v_sub_f16_e32 v16, v17, v16
	v_sub_f16_e32 v19, v21, v19
	v_add_f16_e32 v17, v41, v17
	v_add_f16_e32 v21, v42, v21
	;; [unrolled: 1-line block ×4, first 2 shown]
	v_mul_f16_e32 v30, 0x3a52, v37
	v_mul_f16_e32 v36, 0x3a52, v38
	;; [unrolled: 1-line block ×8, first 2 shown]
	v_mul_f16_sdwa v54, v47, v32 dst_sel:DWORD dst_unused:UNUSED_PAD src0_sel:DWORD src1_sel:WORD_1
	v_mul_f16_sdwa v55, v13, v32 dst_sel:DWORD dst_unused:UNUSED_PAD src0_sel:DWORD src1_sel:WORD_1
	v_fma_f16 v23, v23, s10, v8
	v_fma_f16 v24, v24, s10, v25
	;; [unrolled: 1-line block ×4, first 2 shown]
	v_fma_f16 v37, v39, s1, -v37
	v_fma_f16 v38, v40, s1, -v38
	;; [unrolled: 1-line block ×4, first 2 shown]
	v_fma_f16 v39, v16, s11, v41
	v_fma_f16 v40, v19, s11, v42
	v_fma_f16 v18, v18, s0, -v41
	v_fma_f16 v20, v20, s0, -v42
	v_fma_f16 v16, v16, s5, -v43
	v_fma_f16 v19, v19, s5, -v45
	v_fma_f16 v13, v13, v32, v54
	v_fma_f16 v32, v47, v32, -v55
	v_add_f16_e32 v22, v22, v23
	v_add_f16_e32 v31, v31, v24
	;; [unrolled: 1-line block ×6, first 2 shown]
	v_fma_f16 v30, v17, s6, v39
	v_fma_f16 v36, v21, s6, v40
	;; [unrolled: 1-line block ×6, first 2 shown]
	v_add_f16_e32 v19, v36, v22
	v_sub_f16_e32 v21, v31, v30
	v_add_f16_e32 v39, v17, v23
	v_sub_f16_e32 v40, v24, v16
	v_sub_f16_e32 v41, v37, v20
	v_add_f16_e32 v42, v18, v38
	v_add_f16_e32 v20, v20, v37
	v_sub_f16_e32 v37, v38, v18
	v_sub_f16_e32 v17, v23, v17
	v_add_f16_e32 v23, v16, v24
	v_sub_f16_e32 v16, v22, v36
	v_add_f16_e32 v22, v30, v31
	v_add_f16_e32 v18, v14, v11
	;; [unrolled: 1-line block ×3, first 2 shown]
	v_sub_f16_e32 v11, v14, v11
	v_sub_f16_e32 v14, v26, v33
	v_add_f16_e32 v26, v12, v13
	v_add_f16_e32 v30, v27, v32
	v_sub_f16_e32 v12, v12, v13
	v_sub_f16_e32 v13, v27, v32
	v_add_f16_e32 v27, v9, v15
	v_add_f16_e32 v31, v28, v29
	;; [unrolled: 4-line block ×3, first 2 shown]
	v_sub_f16_e32 v32, v26, v18
	v_sub_f16_e32 v33, v30, v24
	;; [unrolled: 1-line block ×5, first 2 shown]
	v_add_f16_e32 v36, v9, v12
	v_add_f16_e32 v38, v15, v13
	v_sub_f16_e32 v43, v9, v12
	v_sub_f16_e32 v45, v15, v13
	v_add_f16_e32 v27, v27, v28
	v_add_f16_e32 v28, v31, v29
	v_sub_f16_e32 v24, v24, v31
	v_sub_f16_e32 v9, v11, v9
	;; [unrolled: 1-line block ×5, first 2 shown]
	v_add_f16_e32 v11, v36, v11
	v_add_f16_e32 v14, v38, v14
	;; [unrolled: 1-line block ×4, first 2 shown]
	v_mul_f16_e32 v31, 0x2b26, v26
	v_mul_f16_e32 v36, 0x2b26, v30
	;; [unrolled: 1-line block ×8, first 2 shown]
	v_fma_f16 v27, v27, s10, v6
	v_fma_f16 v28, v28, s10, v29
	v_fma_f16 v31, v32, s1, -v31
	v_fma_f16 v36, v33, s1, -v36
	;; [unrolled: 1-line block ×4, first 2 shown]
	v_fma_f16 v26, v26, s12, v18
	v_fma_f16 v30, v30, s12, v24
	v_fma_f16 v18, v32, s4, -v18
	v_fma_f16 v24, v33, s4, -v24
	v_fma_f16 v32, v9, s11, v38
	v_fma_f16 v33, v15, s11, v43
	v_fma_f16 v9, v9, s5, -v44
	v_fma_f16 v15, v15, s5, -v45
	v_add_f16_e32 v31, v31, v27
	v_add_f16_e32 v36, v36, v28
	v_fma_f16 v12, v11, s6, v12
	v_fma_f16 v13, v14, s6, v13
	v_add_f16_e32 v26, v26, v27
	v_add_f16_e32 v18, v18, v27
	v_fma_f16 v27, v11, s6, v32
	v_fma_f16 v9, v11, s6, v9
	;; [unrolled: 1-line block ×3, first 2 shown]
	v_sub_f16_e32 v38, v31, v13
	v_add_f16_e32 v43, v12, v36
	v_add_f16_e32 v13, v13, v31
	v_sub_f16_e32 v31, v36, v12
	v_mov_b32_e32 v12, 1
	v_add_f16_e32 v30, v30, v28
	v_add_f16_e32 v24, v24, v28
	v_fma_f16 v28, v14, s6, v33
	v_add_f16_e32 v15, v11, v18
	v_sub_f16_e32 v11, v18, v11
	v_lshlrev_b32_sdwa v18, v12, v34 dst_sel:DWORD dst_unused:UNUSED_PAD src0_sel:DWORD src1_sel:BYTE_0
	v_add_f16_e32 v14, v28, v26
	v_sub_f16_e32 v32, v30, v27
	v_sub_f16_e32 v33, v24, v9
	v_add_f16_e32 v24, v9, v24
	v_sub_f16_e32 v9, v26, v28
	v_add_f16_e32 v26, v27, v30
	v_add3_u32 v27, 0, v10, v18
	ds_write_b16 v27, v8
	ds_write_b16 v27, v19 offset:72
	ds_write_b16 v27, v39 offset:144
	;; [unrolled: 1-line block ×6, first 2 shown]
	v_lshlrev_b32_sdwa v8, v12, v35 dst_sel:DWORD dst_unused:UNUSED_PAD src0_sel:DWORD src1_sel:BYTE_0
	v_add3_u32 v20, 0, v7, v8
	ds_write_b16 v20, v6
	ds_write_b16 v20, v14 offset:72
	ds_write_b16 v20, v15 offset:144
	;; [unrolled: 1-line block ×6, first 2 shown]
	s_waitcnt lgkmcnt(0)
	s_barrier
	ds_read_u16 v6, v1
	ds_read_u16 v7, v1 offset:2016
	ds_read_u16 v15, v1 offset:1764
	;; [unrolled: 1-line block ×13, first 2 shown]
	s_movk_i32 s12, 0x1f8
	s_waitcnt lgkmcnt(0)
	s_barrier
	ds_write_b16 v27, v25
	ds_write_b16 v27, v21 offset:72
	ds_write_b16 v27, v40 offset:144
	;; [unrolled: 1-line block ×6, first 2 shown]
	ds_write_b16 v20, v29
	ds_write_b16 v20, v32 offset:72
	ds_write_b16 v20, v33 offset:144
	;; [unrolled: 1-line block ×6, first 2 shown]
	s_waitcnt lgkmcnt(0)
	s_barrier
	s_and_saveexec_b64 s[14:15], vcc
	s_cbranch_execz .LBB0_29
; %bb.28:
	v_mul_u32_u24_e32 v4, 6, v4
	v_lshlrev_b32_e32 v4, 2, v4
	global_load_dwordx4 v[20:23], v4, s[8:9] offset:1000
	global_load_dwordx2 v[28:29], v4, s[8:9] offset:1016
	v_mul_u32_u24_e32 v24, 6, v0
	v_lshlrev_b32_e32 v44, 2, v24
	ds_read_u16 v4, v1 offset:1764
	ds_read_u16 v32, v1 offset:1512
	;; [unrolled: 1-line block ×13, first 2 shown]
	ds_read_u16 v1, v1
	global_load_dwordx4 v[24:27], v44, s[8:9] offset:1000
	global_load_dwordx2 v[30:31], v44, s[8:9] offset:1016
	s_waitcnt vmcnt(3)
	v_lshrrev_b32_e32 v44, 16, v20
	v_lshrrev_b32_e32 v45, 16, v21
	;; [unrolled: 1-line block ×4, first 2 shown]
	v_mul_f16_e32 v48, v16, v20
	s_waitcnt vmcnt(2)
	v_lshrrev_b32_e32 v49, 16, v28
	v_lshrrev_b32_e32 v50, 16, v29
	v_mul_f16_e32 v51, v18, v29
	v_mul_f16_e32 v54, v14, v21
	;; [unrolled: 1-line block ×5, first 2 shown]
	s_waitcnt lgkmcnt(9)
	v_fma_f16 v48, v35, v44, v48
	s_waitcnt lgkmcnt(7)
	v_fma_f16 v51, v37, v50, v51
	v_fma_f16 v54, v33, v45, v54
	s_waitcnt lgkmcnt(5)
	v_fma_f16 v55, v39, v49, v55
	v_mul_f16_e32 v18, v18, v50
	v_mul_f16_e32 v16, v16, v44
	v_mul_f16_e32 v15, v15, v46
	v_mul_f16_e32 v19, v19, v47
	v_mul_f16_e32 v17, v17, v49
	v_mul_f16_e32 v14, v14, v45
	s_waitcnt lgkmcnt(3)
	v_fma_f16 v52, v41, v47, v52
	v_fma_f16 v53, v4, v46, v53
	v_fma_f16 v18, v37, v29, -v18
	v_fma_f16 v16, v35, v20, -v16
	;; [unrolled: 1-line block ×6, first 2 shown]
	v_add_f16_e32 v19, v48, v51
	v_add_f16_e32 v21, v54, v55
	v_sub_f16_e32 v44, v48, v51
	v_sub_f16_e32 v45, v52, v53
	;; [unrolled: 1-line block ×3, first 2 shown]
	v_add_f16_e32 v20, v52, v53
	v_add_f16_e32 v29, v16, v18
	;; [unrolled: 1-line block ×5, first 2 shown]
	v_sub_f16_e32 v16, v16, v18
	v_sub_f16_e32 v4, v15, v4
	;; [unrolled: 1-line block ×5, first 2 shown]
	v_add_f16_e32 v28, v45, v46
	v_sub_f16_e32 v37, v19, v20
	v_sub_f16_e32 v39, v20, v21
	v_add_f16_e32 v45, v29, v35
	v_add_f16_e32 v20, v20, v41
	v_sub_f16_e32 v41, v16, v4
	v_sub_f16_e32 v17, v4, v14
	v_add_f16_e32 v4, v4, v14
	v_sub_f16_e32 v14, v14, v16
	v_mul_f16_e32 v15, 0x3846, v23
	v_add_f16_e32 v18, v44, v28
	v_sub_f16_e32 v23, v29, v33
	v_sub_f16_e32 v28, v33, v35
	v_add_f16_e32 v33, v33, v45
	v_mul_f16_e32 v17, 0x3846, v17
	v_add_f16_e32 v4, v16, v4
	v_sub_f16_e32 v44, v46, v44
	v_mul_f16_e32 v16, 0xbb00, v14
	v_mul_f16_e32 v47, 0x3a52, v37
	;; [unrolled: 1-line block ×4, first 2 shown]
	v_add_f16_e32 v13, v13, v20
	s_waitcnt lgkmcnt(1)
	v_add_f16_e32 v43, v43, v33
	v_fma_f16 v50, v41, s11, v17
	v_mul_f16_e32 v46, 0xbb00, v44
	v_sub_f16_e32 v29, v35, v29
	v_sub_f16_e32 v19, v21, v19
	v_fma_f16 v16, v41, s5, -v16
	v_fma_f16 v14, v14, s0, -v17
	v_fma_f16 v48, v22, s11, v15
	v_mul_f16_e32 v28, 0x2b26, v28
	v_fma_f16 v20, v20, s10, v13
	v_fma_f16 v33, v33, s10, v43
	;; [unrolled: 1-line block ×3, first 2 shown]
	v_fma_f16 v22, v22, s5, -v46
	v_fma_f16 v35, v29, s4, -v49
	v_fma_f16 v21, v19, s4, -v47
	v_fma_f16 v16, v4, s6, v16
	v_fma_f16 v4, v4, s6, v14
	v_fma_f16 v14, v19, s1, -v39
	v_fma_f16 v37, v37, s7, v39
	v_fma_f16 v23, v23, s7, v28
	;; [unrolled: 1-line block ×3, first 2 shown]
	v_add_f16_e32 v35, v35, v33
	v_add_f16_e32 v21, v21, v20
	v_fma_f16 v28, v29, s1, -v28
	v_fma_f16 v15, v44, s0, -v15
	v_add_f16_e32 v14, v14, v20
	v_fma_f16 v45, v18, s6, v48
	v_add_f16_e32 v37, v37, v20
	v_add_f16_e32 v23, v23, v33
	;; [unrolled: 1-line block ×3, first 2 shown]
	v_sub_f16_e32 v41, v21, v16
	v_add_f16_e32 v28, v28, v33
	v_fma_f16 v15, v18, s6, v15
	v_add_f16_e32 v17, v4, v14
	v_sub_f16_e32 v4, v14, v4
	v_sub_f16_e32 v14, v35, v22
	v_add_f16_e32 v16, v16, v21
	s_waitcnt vmcnt(1)
	v_lshrrev_b32_e32 v21, 16, v24
	v_lshrrev_b32_e32 v22, 16, v25
	s_waitcnt vmcnt(0)
	v_lshrrev_b32_e32 v33, 16, v30
	v_lshrrev_b32_e32 v35, 16, v31
	v_add_f16_e32 v48, v45, v23
	v_sub_f16_e32 v51, v37, v50
	v_sub_f16_e32 v18, v28, v15
	v_add_f16_e32 v15, v15, v28
	v_sub_f16_e32 v19, v23, v45
	v_add_f16_e32 v20, v50, v37
	v_lshrrev_b32_e32 v23, 16, v26
	v_lshrrev_b32_e32 v28, 16, v27
	v_mul_f16_e32 v29, v11, v24
	v_mul_f16_e32 v37, v12, v31
	;; [unrolled: 1-line block ×10, first 2 shown]
	v_fma_f16 v12, v38, v31, -v12
	v_fma_f16 v11, v36, v24, -v11
	v_mul_f16_e32 v9, v9, v23
	v_mul_f16_e32 v7, v7, v28
	v_fma_f16 v10, v40, v30, -v10
	v_fma_f16 v8, v34, v25, -v8
	v_fma_f16 v29, v36, v21, v29
	v_fma_f16 v37, v38, v35, v37
	;; [unrolled: 1-line block ×4, first 2 shown]
	v_add_f16_e32 v21, v11, v12
	v_fma_f16 v9, v32, v26, -v9
	v_fma_f16 v7, v42, v27, -v7
	v_add_f16_e32 v22, v8, v10
	v_fma_f16 v44, v42, v28, v44
	v_fma_f16 v45, v32, v23, v45
	v_add_f16_e32 v23, v7, v9
	v_add_f16_e32 v27, v21, v22
	v_add_f16_e32 v28, v29, v37
	v_add_f16_e32 v32, v50, v52
	v_sub_f16_e32 v11, v11, v12
	v_sub_f16_e32 v7, v7, v9
	;; [unrolled: 1-line block ×8, first 2 shown]
	v_add_f16_e32 v23, v23, v27
	v_add_f16_e32 v29, v44, v45
	;; [unrolled: 1-line block ×3, first 2 shown]
	v_sub_f16_e32 v9, v11, v7
	v_sub_f16_e32 v10, v7, v8
	v_add_f16_e32 v7, v7, v8
	v_sub_f16_e32 v8, v8, v11
	v_sub_f16_e32 v54, v47, v53
	v_mul_f16_e32 v26, 0x3a52, v24
	v_mul_f16_e32 v25, 0x2b26, v25
	s_waitcnt lgkmcnt(0)
	v_add_f16_e32 v27, v1, v23
	v_sub_f16_e32 v30, v28, v29
	v_sub_f16_e32 v33, v29, v32
	v_add_f16_e32 v29, v29, v34
	v_mul_f16_e32 v10, 0x3846, v10
	v_add_f16_e32 v7, v11, v7
	v_sub_f16_e32 v35, v53, v39
	v_sub_f16_e32 v21, v22, v21
	v_mul_f16_e32 v11, 0xbb00, v8
	v_sub_f16_e32 v49, v39, v47
	v_mul_f16_e32 v54, 0x3846, v54
	v_add_f16_e32 v47, v47, v53
	v_fma_f16 v24, v24, s7, v25
	v_fma_f16 v1, v23, s10, v27
	v_mul_f16_e32 v33, 0x2b26, v33
	v_add_f16_e32 v6, v6, v29
	v_fma_f16 v12, v9, s11, v10
	v_mul_f16_e32 v36, 0xbb00, v35
	v_fma_f16 v22, v21, s4, -v26
	v_sub_f16_e32 v28, v32, v28
	v_fma_f16 v9, v9, s5, -v11
	v_fma_f16 v21, v21, s1, -v25
	v_fma_f16 v8, v8, s0, -v10
	v_fma_f16 v55, v49, s11, v54
	v_add_f16_e32 v47, v39, v47
	v_add_f16_e32 v23, v24, v1
	v_fma_f16 v29, v29, s10, v6
	v_fma_f16 v12, v7, s6, v12
	v_fma_f16 v36, v49, s5, -v36
	v_add_f16_e32 v22, v22, v1
	v_fma_f16 v9, v7, s6, v9
	v_add_f16_e32 v1, v21, v1
	v_fma_f16 v21, v35, s0, -v54
	v_fma_f16 v7, v7, s6, v8
	v_fma_f16 v8, v28, s1, -v33
	v_fma_f16 v55, v47, s6, v55
	v_mul_f16_e32 v31, 0x3a52, v30
	v_fma_f16 v36, v47, s6, v36
	v_fma_f16 v21, v47, s6, v21
	v_add_f16_e32 v8, v8, v29
	v_add_f16_e32 v24, v55, v23
	;; [unrolled: 1-line block ×3, first 2 shown]
	v_fma_f16 v31, v28, s4, -v31
	v_sub_f16_e32 v25, v1, v21
	v_add_f16_e32 v10, v7, v8
	v_add_f16_e32 v21, v21, v1
	v_sub_f16_e32 v7, v8, v7
	v_sub_f16_e32 v8, v22, v36
	;; [unrolled: 1-line block ×3, first 2 shown]
	v_mov_b32_e32 v1, 0
	v_mov_b32_e32 v23, s3
	v_add_co_u32_e32 v28, vcc, s2, v2
	v_addc_co_u32_e32 v23, vcc, v23, v3, vcc
	v_lshlrev_b64 v[2:3], 2, v[0:1]
	v_fma_f16 v30, v30, s7, v33
	v_add_f16_e32 v30, v30, v29
	v_add_co_u32_e32 v2, vcc, v28, v2
	v_sub_f16_e32 v34, v30, v12
	v_add_f16_e32 v31, v31, v29
	v_add_f16_e32 v12, v12, v30
	v_addc_co_u32_e32 v3, vcc, v23, v3, vcc
	v_pack_b32_f16 v0, v6, v27
	v_sub_f16_e32 v11, v31, v9
	v_add_f16_e32 v9, v9, v31
	global_store_dword v[2:3], v0, off
	v_pack_b32_f16 v0, v12, v22
	s_movk_i32 s0, 0x1000
	global_store_dword v[2:3], v0, off offset:1008
	v_pack_b32_f16 v0, v9, v8
	v_add_co_u32_e32 v6, vcc, s0, v2
	s_mov_b32 s0, 0x20820821
	global_store_dword v[2:3], v0, off offset:2016
	v_pack_b32_f16 v0, v7, v21
	v_mul_hi_u32 v5, v5, s0
	global_store_dword v[2:3], v0, off offset:3024
	v_pack_b32_f16 v0, v10, v25
	global_store_dword v[2:3], v0, off offset:4032
	v_pack_b32_f16 v0, v11, v26
	v_addc_co_u32_e32 v7, vcc, 0, v3, vcc
	global_store_dword v[6:7], v0, off offset:944
	v_pack_b32_f16 v0, v34, v24
	global_store_dword v[6:7], v0, off offset:1952
	v_lshrrev_b32_e32 v0, 3, v5
	v_mul_u32_u24_e32 v0, 0x5e8, v0
	v_lshlrev_b64 v[0:1], 2, v[0:1]
	v_pack_b32_f16 v5, v13, v43
	v_add_co_u32_e32 v0, vcc, v2, v0
	v_addc_co_u32_e32 v1, vcc, v3, v1, vcc
	v_add_co_u32_e32 v2, vcc, s12, v0
	global_store_dword v[0:1], v5, off offset:504
	v_pack_b32_f16 v5, v20, v19
	v_addc_co_u32_e32 v3, vcc, 0, v1, vcc
	global_store_dword v[0:1], v5, off offset:1512
	v_pack_b32_f16 v5, v16, v14
	v_pack_b32_f16 v4, v4, v15
	global_store_dword v[0:1], v5, off offset:2520
	global_store_dword v[0:1], v4, off offset:3528
	v_pack_b32_f16 v4, v17, v18
	v_add_co_u32_e32 v0, vcc, 0x1000, v0
	global_store_dword v[2:3], v4, off offset:4032
	v_pack_b32_f16 v2, v41, v46
	v_addc_co_u32_e32 v1, vcc, 0, v1, vcc
	global_store_dword v[0:1], v2, off offset:1448
	v_pack_b32_f16 v2, v51, v48
	global_store_dword v[0:1], v2, off offset:2456
.LBB0_29:
	s_endpgm
	.section	.rodata,"a",@progbits
	.p2align	6, 0x0
	.amdhsa_kernel fft_rtc_back_len1764_factors_2_2_3_3_7_7_wgs_126_tpt_126_halfLds_half_ip_CI_unitstride_sbrr_dirReg
		.amdhsa_group_segment_fixed_size 0
		.amdhsa_private_segment_fixed_size 0
		.amdhsa_kernarg_size 88
		.amdhsa_user_sgpr_count 6
		.amdhsa_user_sgpr_private_segment_buffer 1
		.amdhsa_user_sgpr_dispatch_ptr 0
		.amdhsa_user_sgpr_queue_ptr 0
		.amdhsa_user_sgpr_kernarg_segment_ptr 1
		.amdhsa_user_sgpr_dispatch_id 0
		.amdhsa_user_sgpr_flat_scratch_init 0
		.amdhsa_user_sgpr_private_segment_size 0
		.amdhsa_uses_dynamic_stack 0
		.amdhsa_system_sgpr_private_segment_wavefront_offset 0
		.amdhsa_system_sgpr_workgroup_id_x 1
		.amdhsa_system_sgpr_workgroup_id_y 0
		.amdhsa_system_sgpr_workgroup_id_z 0
		.amdhsa_system_sgpr_workgroup_info 0
		.amdhsa_system_vgpr_workitem_id 0
		.amdhsa_next_free_vgpr 62
		.amdhsa_next_free_sgpr 22
		.amdhsa_reserve_vcc 1
		.amdhsa_reserve_flat_scratch 0
		.amdhsa_float_round_mode_32 0
		.amdhsa_float_round_mode_16_64 0
		.amdhsa_float_denorm_mode_32 3
		.amdhsa_float_denorm_mode_16_64 3
		.amdhsa_dx10_clamp 1
		.amdhsa_ieee_mode 1
		.amdhsa_fp16_overflow 0
		.amdhsa_exception_fp_ieee_invalid_op 0
		.amdhsa_exception_fp_denorm_src 0
		.amdhsa_exception_fp_ieee_div_zero 0
		.amdhsa_exception_fp_ieee_overflow 0
		.amdhsa_exception_fp_ieee_underflow 0
		.amdhsa_exception_fp_ieee_inexact 0
		.amdhsa_exception_int_div_zero 0
	.end_amdhsa_kernel
	.text
.Lfunc_end0:
	.size	fft_rtc_back_len1764_factors_2_2_3_3_7_7_wgs_126_tpt_126_halfLds_half_ip_CI_unitstride_sbrr_dirReg, .Lfunc_end0-fft_rtc_back_len1764_factors_2_2_3_3_7_7_wgs_126_tpt_126_halfLds_half_ip_CI_unitstride_sbrr_dirReg
                                        ; -- End function
	.section	.AMDGPU.csdata,"",@progbits
; Kernel info:
; codeLenInByte = 9964
; NumSgprs: 26
; NumVgprs: 62
; ScratchSize: 0
; MemoryBound: 0
; FloatMode: 240
; IeeeMode: 1
; LDSByteSize: 0 bytes/workgroup (compile time only)
; SGPRBlocks: 3
; VGPRBlocks: 15
; NumSGPRsForWavesPerEU: 26
; NumVGPRsForWavesPerEU: 62
; Occupancy: 4
; WaveLimiterHint : 1
; COMPUTE_PGM_RSRC2:SCRATCH_EN: 0
; COMPUTE_PGM_RSRC2:USER_SGPR: 6
; COMPUTE_PGM_RSRC2:TRAP_HANDLER: 0
; COMPUTE_PGM_RSRC2:TGID_X_EN: 1
; COMPUTE_PGM_RSRC2:TGID_Y_EN: 0
; COMPUTE_PGM_RSRC2:TGID_Z_EN: 0
; COMPUTE_PGM_RSRC2:TIDIG_COMP_CNT: 0
	.type	__hip_cuid_b8e88e86cfbd3080,@object ; @__hip_cuid_b8e88e86cfbd3080
	.section	.bss,"aw",@nobits
	.globl	__hip_cuid_b8e88e86cfbd3080
__hip_cuid_b8e88e86cfbd3080:
	.byte	0                               ; 0x0
	.size	__hip_cuid_b8e88e86cfbd3080, 1

	.ident	"AMD clang version 19.0.0git (https://github.com/RadeonOpenCompute/llvm-project roc-6.4.0 25133 c7fe45cf4b819c5991fe208aaa96edf142730f1d)"
	.section	".note.GNU-stack","",@progbits
	.addrsig
	.addrsig_sym __hip_cuid_b8e88e86cfbd3080
	.amdgpu_metadata
---
amdhsa.kernels:
  - .args:
      - .actual_access:  read_only
        .address_space:  global
        .offset:         0
        .size:           8
        .value_kind:     global_buffer
      - .offset:         8
        .size:           8
        .value_kind:     by_value
      - .actual_access:  read_only
        .address_space:  global
        .offset:         16
        .size:           8
        .value_kind:     global_buffer
      - .actual_access:  read_only
        .address_space:  global
        .offset:         24
        .size:           8
        .value_kind:     global_buffer
      - .offset:         32
        .size:           8
        .value_kind:     by_value
      - .actual_access:  read_only
        .address_space:  global
        .offset:         40
        .size:           8
        .value_kind:     global_buffer
      - .actual_access:  read_only
        .address_space:  global
        .offset:         48
        .size:           8
        .value_kind:     global_buffer
      - .offset:         56
        .size:           4
        .value_kind:     by_value
      - .actual_access:  read_only
        .address_space:  global
        .offset:         64
        .size:           8
        .value_kind:     global_buffer
      - .actual_access:  read_only
        .address_space:  global
        .offset:         72
        .size:           8
        .value_kind:     global_buffer
      - .address_space:  global
        .offset:         80
        .size:           8
        .value_kind:     global_buffer
    .group_segment_fixed_size: 0
    .kernarg_segment_align: 8
    .kernarg_segment_size: 88
    .language:       OpenCL C
    .language_version:
      - 2
      - 0
    .max_flat_workgroup_size: 126
    .name:           fft_rtc_back_len1764_factors_2_2_3_3_7_7_wgs_126_tpt_126_halfLds_half_ip_CI_unitstride_sbrr_dirReg
    .private_segment_fixed_size: 0
    .sgpr_count:     26
    .sgpr_spill_count: 0
    .symbol:         fft_rtc_back_len1764_factors_2_2_3_3_7_7_wgs_126_tpt_126_halfLds_half_ip_CI_unitstride_sbrr_dirReg.kd
    .uniform_work_group_size: 1
    .uses_dynamic_stack: false
    .vgpr_count:     62
    .vgpr_spill_count: 0
    .wavefront_size: 64
amdhsa.target:   amdgcn-amd-amdhsa--gfx906
amdhsa.version:
  - 1
  - 2
...

	.end_amdgpu_metadata
